;; amdgpu-corpus repo=pytorch/pytorch kind=compiled arch=gfx1250 opt=O3
	.amdgcn_target "amdgcn-amd-amdhsa--gfx1250"
	.amdhsa_code_object_version 6
	.section	.text._ZN2at6native12_GLOBAL__N_123philox_key_split_kernelEPKmPmll,"axG",@progbits,_ZN2at6native12_GLOBAL__N_123philox_key_split_kernelEPKmPmll,comdat
	.globl	_ZN2at6native12_GLOBAL__N_123philox_key_split_kernelEPKmPmll ; -- Begin function _ZN2at6native12_GLOBAL__N_123philox_key_split_kernelEPKmPmll
	.p2align	8
	.type	_ZN2at6native12_GLOBAL__N_123philox_key_split_kernelEPKmPmll,@function
_ZN2at6native12_GLOBAL__N_123philox_key_split_kernelEPKmPmll: ; @_ZN2at6native12_GLOBAL__N_123philox_key_split_kernelEPKmPmll
; %bb.0:
	s_clause 0x1
	s_load_b32 s2, s[0:1], 0x2c
	s_load_b128 s[4:7], s[0:1], 0x10
	s_bfe_u32 s3, ttmp6, 0x4000c
	v_mov_b32_e32 v4, 0
	s_add_co_i32 s3, s3, 1
	s_and_b32 s8, ttmp6, 15
	s_mul_i32 s3, ttmp9, s3
	s_getreg_b32 s9, hwreg(HW_REG_IB_STS2, 6, 4)
	v_mov_b32_e32 v1, v4
	s_add_co_i32 s8, s8, s3
	s_wait_kmcnt 0x0
	s_and_b32 s2, s2, 0xffff
	s_cmp_eq_u32 s9, 0
	s_mul_u64 s[6:7], s[6:7], s[4:5]
	s_cselect_b32 s3, ttmp9, s8
	s_mov_b32 s8, exec_lo
	v_mad_nc_u64_u32 v[6:7], s2, s3, v[0:1]
	s_mov_b32 s3, 0
	s_delay_alu instid0(VALU_DEP_1)
	v_cmpx_gt_i64_e64 s[6:7], v[6:7]
	s_cbranch_execz .LBB0_7
; %bb.1:
	v_cvt_f32_u32_e32 v0, s4
	s_add_nc_u64 s[8:9], s[0:1], 32
	v_lshlrev_b64_e32 v[8:9], 4, v[6:7]
	s_load_b32 s12, s[8:9], 0x0
	s_wait_xcnt 0x0
	s_sub_co_i32 s8, 0, s4
	v_rcp_iflag_f32_e32 v0, v0
	s_mov_b32 s13, s3
	s_mov_b64 s[14:15], 0xffffffff
	s_mov_b64 s[16:17], 0xd2511f53
	s_mov_b64 s[18:19], 0xcd9e8d57
	s_ashr_i32 s24, s5, 31
	v_nop
	v_mul_f32_e32 v0, 0x4f7ffffe, v0
	s_delay_alu instid0(VALU_DEP_1) | instskip(NEXT) | instid1(VALU_DEP_1)
	v_cvt_u32_f32_e32 v0, v0
	v_mul_lo_u32 v1, s8, v0
	s_load_b128 s[8:11], s[0:1], 0x0
	s_wait_kmcnt 0x0
	s_mul_u64 s[12:13], s[2:3], s[12:13]
	s_lshl_b64 s[0:1], s[4:5], 4
	s_lshl_b64 s[22:23], s[12:13], 4
	s_sub_nc_u64 s[20:21], 0, s[0:1]
	s_mov_b32 s1, 0
	s_delay_alu instid0(VALU_DEP_1) | instskip(NEXT) | instid1(VALU_DEP_1)
	v_mul_hi_u32 v1, v0, v1
	v_add_nc_u32_e32 v12, v0, v1
	s_branch .LBB0_3
.LBB0_2:                                ;   in Loop: Header=BB0_3 Depth=1
	s_or_b32 exec_lo, exec_lo, s0
	s_delay_alu instid0(VALU_DEP_1) | instskip(SKIP_2) | instid1(VALU_DEP_1)
	v_mad_nc_u64_u32 v[0:1], s20, v10, v[8:9]
	v_dual_mov_b32 v15, v4 :: v_dual_mov_b32 v17, v4
	v_add_nc_u64_e32 v[6:7], s[12:13], v[6:7]
	v_cmp_le_i64_e32 vcc_lo, s[6:7], v[6:7]
	s_delay_alu instid0(VALU_DEP_4) | instskip(SKIP_1) | instid1(VALU_DEP_1)
	v_mad_u32 v1, s21, v10, v1
	s_or_b32 s1, vcc_lo, s1
	v_mad_u32 v1, s20, v11, v1
	s_delay_alu instid0(VALU_DEP_1) | instskip(SKIP_4) | instid1(VALU_DEP_2)
	v_add_nc_u64_e32 v[0:1], s[8:9], v[0:1]
	global_load_b128 v[0:3], v[0:1], off
	s_wait_loadcnt 0x0
	v_add_nc_u64_e32 v[2:3], v[2:3], v[10:11]
	v_mov_b32_e32 v11, v4
	v_dual_mov_b32 v10, v2 :: v_dual_add_nc_u32 v5, 0x9e3779b9, v0
	s_delay_alu instid0(VALU_DEP_3) | instskip(SKIP_2) | instid1(VALU_DEP_4)
	v_xor_b32_e32 v16, v3, v0
	v_mul_lo_u32 v2, 0xd2511f53, v2
	v_add_nc_u32_e32 v3, 0xbb67ae85, v1
	v_mul_u64_e32 v[10:11], s[16:17], v[10:11]
	s_delay_alu instid0(VALU_DEP_1) | instskip(SKIP_1) | instid1(VALU_DEP_2)
	v_xor_b32_e32 v14, v11, v1
	v_mul_u64_e32 v[10:11], s[16:17], v[16:17]
	v_mul_u64_e32 v[18:19], s[18:19], v[14:15]
	v_mul_lo_u32 v10, 0xcd9e8d57, v14
	v_add_nc_u32_e32 v14, 0x3c6ef372, v0
	v_add_nc_u32_e32 v15, 0x76cf5d0a, v1
	v_xor3_b32 v2, v2, v3, v11
	v_xor_b32_e32 v3, v5, v19
	v_mul_lo_u32 v5, 0xd2511f53, v16
	s_delay_alu instid0(VALU_DEP_3) | instskip(SKIP_1) | instid1(VALU_DEP_4)
	v_mul_hi_u32 v11, 0xcd9e8d57, v2
	v_mul_lo_u32 v2, 0xcd9e8d57, v2
	v_mul_hi_u32 v13, 0xd2511f53, v3
	v_mul_lo_u32 v3, 0xd2511f53, v3
	s_delay_alu instid0(VALU_DEP_4) | instskip(SKIP_1) | instid1(VALU_DEP_4)
	v_xor3_b32 v10, v10, v14, v11
	v_add_nc_u32_e32 v14, 0xdaa66d2b, v0
	v_xor3_b32 v5, v5, v15, v13
	v_add_nc_u32_e32 v15, 0x32370b8f, v1
	s_delay_alu instid0(VALU_DEP_4) | instskip(SKIP_1) | instid1(VALU_DEP_4)
	v_mul_hi_u32 v11, 0xd2511f53, v10
	v_mul_lo_u32 v10, 0xd2511f53, v10
	v_mul_hi_u32 v13, 0xcd9e8d57, v5
	v_mul_lo_u32 v5, 0xcd9e8d57, v5
	s_delay_alu instid0(VALU_DEP_4) | instskip(SKIP_1) | instid1(VALU_DEP_4)
	v_xor3_b32 v3, v3, v15, v11
	v_add_nc_u32_e32 v15, 0x78dde6e4, v0
	v_xor3_b32 v2, v2, v14, v13
	v_add_nc_u32_e32 v14, 0xed9eba14, v1
	s_delay_alu instid0(VALU_DEP_4) | instskip(SKIP_1) | instid1(VALU_DEP_4)
	;; [unrolled: 10-line block ×6, first 2 shown]
	v_mul_hi_u32 v13, 0xcd9e8d57, v3
	v_mul_lo_u32 v3, 0xcd9e8d57, v3
	v_mul_hi_u32 v11, 0xd2511f53, v2
	v_mul_lo_u32 v2, 0xd2511f53, v2
	s_delay_alu instid0(VALU_DEP_4) | instskip(NEXT) | instid1(VALU_DEP_3)
	v_xor3_b32 v5, v5, v15, v13
	v_xor3_b32 v10, v10, v14, v11
	v_add_nc_u32_e32 v14, 0x8ff34781, v0
	s_delay_alu instid0(VALU_DEP_3)
	v_mul_hi_u32 v13, 0xd2511f53, v5
	v_mul_lo_u32 v17, 0xd2511f53, v5
	v_add_nc_u32_e32 v5, 0x96a522ad, v1
	v_mul_hi_u32 v11, 0xcd9e8d57, v10
	v_mul_lo_u32 v15, 0xcd9e8d57, v10
	s_wait_xcnt 0x0
	v_add_nc_u64_e32 v[0:1], s[10:11], v[8:9]
	v_add_nc_u64_e32 v[8:9], s[22:23], v[8:9]
	v_xor3_b32 v16, v2, v5, v13
	v_xor3_b32 v14, v3, v14, v11
	global_store_b128 v[0:1], v[14:17], off
	s_wait_xcnt 0x0
	s_and_not1_b32 exec_lo, exec_lo, s1
	s_cbranch_execz .LBB0_7
.LBB0_3:                                ; =>This Inner Loop Header: Depth=1
	v_or_b32_e32 v5, s5, v7
                                        ; implicit-def: $vgpr10_vgpr11
	s_mov_b32 s0, exec_lo
	s_delay_alu instid0(VALU_DEP_1)
	v_cmpx_ne_u64_e32 0, v[4:5]
	s_xor_b32 s28, exec_lo, s0
	s_cbranch_execz .LBB0_5
; %bb.4:                                ;   in Loop: Header=BB0_3 Depth=1
	s_mov_b32 s25, s24
	v_dual_mov_b32 v11, v4 :: v_dual_ashrrev_i32 v0, 31, v7
	s_add_nc_u64 s[26:27], s[4:5], s[24:25]
	v_mov_b32_e32 v21, v4
	s_xor_b64 s[26:27], s[26:27], s[24:25]
	s_delay_alu instid0(VALU_DEP_2) | instskip(SKIP_3) | instid1(VALU_DEP_1)
	v_mov_b32_e32 v1, v0
	s_cvt_f32_u32 s0, s26
	s_cvt_f32_u32 s2, s27
	s_sub_nc_u64 s[34:35], 0, s[26:27]
	v_add_nc_u64_e32 v[2:3], v[6:7], v[0:1]
	s_delay_alu instid0(SALU_CYCLE_1) | instskip(SKIP_1) | instid1(SALU_CYCLE_2)
	s_fmamk_f32 s0, s2, 0x4f800000, s0
	v_mov_b32_e32 v17, v4
	v_s_rcp_f32 s0, s0
	s_delay_alu instid0(VALU_DEP_2) | instskip(NEXT) | instid1(VALU_DEP_3)
	v_xor_b32_e32 v10, v2, v0
	v_xor_b32_e32 v16, v3, v0
	s_delay_alu instid0(TRANS32_DEP_1) | instskip(NEXT) | instid1(SALU_CYCLE_3)
	s_mul_f32 s0, s0, 0x5f7ffffc
	s_mul_f32 s2, s0, 0x2f800000
	s_delay_alu instid0(SALU_CYCLE_3) | instskip(NEXT) | instid1(SALU_CYCLE_3)
	s_trunc_f32 s2, s2
	s_fmamk_f32 s0, s2, 0xcf800000, s0
	s_cvt_u32_f32 s31, s2
	s_delay_alu instid0(SALU_CYCLE_2) | instskip(NEXT) | instid1(SALU_CYCLE_3)
	s_cvt_u32_f32 s30, s0
	s_mul_u64 s[36:37], s[34:35], s[30:31]
	s_delay_alu instid0(SALU_CYCLE_1)
	s_mul_hi_u32 s39, s30, s37
	s_mul_i32 s38, s30, s37
	s_mul_hi_u32 s2, s30, s36
	s_mul_i32 s25, s31, s36
	s_add_nc_u64 s[38:39], s[2:3], s[38:39]
	s_mul_hi_u32 s0, s31, s36
	s_mul_hi_u32 s29, s31, s37
	s_add_co_u32 s2, s38, s25
	s_add_co_ci_u32 s2, s39, s0
	s_mul_i32 s36, s31, s37
	s_add_co_ci_u32 s37, s29, 0
	s_delay_alu instid0(SALU_CYCLE_1) | instskip(NEXT) | instid1(SALU_CYCLE_1)
	s_add_nc_u64 s[36:37], s[2:3], s[36:37]
	s_add_co_u32 s30, s30, s36
	s_cselect_b32 s0, -1, 0
	s_delay_alu instid0(SALU_CYCLE_1) | instskip(SKIP_1) | instid1(SALU_CYCLE_1)
	s_cmp_lg_u32 s0, 0
	s_add_co_ci_u32 s31, s31, s37
	s_mul_u64 s[34:35], s[34:35], s[30:31]
	s_delay_alu instid0(SALU_CYCLE_1)
	s_mul_hi_u32 s37, s30, s35
	s_mul_i32 s36, s30, s35
	s_mul_hi_u32 s2, s30, s34
	s_mul_i32 s25, s31, s34
	s_add_nc_u64 s[36:37], s[2:3], s[36:37]
	s_mul_hi_u32 s0, s31, s34
	s_mul_hi_u32 s29, s31, s35
	s_add_co_u32 s2, s36, s25
	s_add_co_ci_u32 s2, s37, s0
	s_mul_i32 s34, s31, s35
	s_add_co_ci_u32 s35, s29, 0
	s_delay_alu instid0(SALU_CYCLE_1) | instskip(NEXT) | instid1(SALU_CYCLE_1)
	s_add_nc_u64 s[34:35], s[2:3], s[34:35]
	s_add_co_u32 s0, s30, s34
	s_cselect_b32 s2, -1, 0
	v_mul_hi_u32 v20, v10, s0
	s_cmp_lg_u32 s2, 0
	s_add_co_ci_u32 s2, s31, s35
	s_and_b64 s[30:31], s[0:1], s[14:15]
	v_mul_u64_e32 v[14:15], s[2:3], v[10:11]
	v_mul_u64_e32 v[2:3], s[30:31], v[16:17]
	v_mul_u64_e32 v[18:19], s[2:3], v[16:17]
	s_delay_alu instid0(VALU_DEP_3) | instskip(NEXT) | instid1(VALU_DEP_1)
	v_add_nc_u64_e32 v[14:15], v[20:21], v[14:15]
	v_add_co_u32 v1, vcc_lo, v14, v2
	s_delay_alu instid0(VALU_DEP_2) | instskip(NEXT) | instid1(VALU_DEP_4)
	v_add_co_ci_u32_e32 v20, vcc_lo, v15, v3, vcc_lo
	v_add_co_ci_u32_e32 v19, vcc_lo, 0, v19, vcc_lo
	s_delay_alu instid0(VALU_DEP_1) | instskip(NEXT) | instid1(VALU_DEP_1)
	v_add_nc_u64_e32 v[2:3], v[20:21], v[18:19]
	v_mul_u64_e32 v[14:15], s[26:27], v[2:3]
	s_delay_alu instid0(VALU_DEP_1) | instskip(NEXT) | instid1(VALU_DEP_2)
	v_sub_nc_u32_e32 v1, v16, v15
	v_sub_co_u32 v5, vcc_lo, v10, v14
	s_delay_alu instid0(VALU_DEP_1) | instskip(NEXT) | instid1(VALU_DEP_3)
	v_sub_co_ci_u32_e64 v13, null, v16, v15, vcc_lo
	v_subrev_co_ci_u32_e64 v1, null, s27, v1, vcc_lo
	s_delay_alu instid0(VALU_DEP_3) | instskip(SKIP_1) | instid1(VALU_DEP_3)
	v_sub_co_u32 v10, s0, v5, s26
	v_add_nc_u64_e32 v[14:15], 1, v[2:3]
	v_subrev_co_ci_u32_e64 v1, null, 0, v1, s0
	s_delay_alu instid0(VALU_DEP_3) | instskip(SKIP_1) | instid1(VALU_DEP_3)
	v_cmp_le_u32_e32 vcc_lo, s26, v10
	v_cndmask_b32_e64 v10, 0, -1, vcc_lo
	v_cmp_le_u32_e32 vcc_lo, s27, v1
	v_cndmask_b32_e64 v11, 0, -1, vcc_lo
	;; [unrolled: 2-line block ×4, first 2 shown]
	v_cmp_eq_u32_e32 vcc_lo, s27, v1
	v_cndmask_b32_e32 v1, v11, v10, vcc_lo
	v_cmp_eq_u32_e32 vcc_lo, s27, v13
	v_add_nc_u64_e32 v[10:11], 2, v[2:3]
	v_cndmask_b32_e32 v5, v16, v5, vcc_lo
	s_delay_alu instid0(VALU_DEP_4) | instskip(NEXT) | instid1(VALU_DEP_2)
	v_cmp_ne_u32_e32 vcc_lo, 0, v1
	v_cmp_ne_u32_e64 s0, 0, v5
	s_delay_alu instid0(VALU_DEP_4) | instskip(NEXT) | instid1(VALU_DEP_1)
	v_dual_cndmask_b32 v1, v15, v11, vcc_lo :: v_dual_cndmask_b32 v5, v14, v10, vcc_lo
	v_dual_cndmask_b32 v3, v3, v1, s0 :: v_dual_bitop2_b32 v0, s24, v0 bitop3:0x14
	s_delay_alu instid0(VALU_DEP_1) | instskip(NEXT) | instid1(VALU_DEP_2)
	v_dual_cndmask_b32 v2, v2, v5, s0 :: v_dual_mov_b32 v1, v0
	v_xor_b32_e32 v3, v3, v0
	s_delay_alu instid0(VALU_DEP_2) | instskip(NEXT) | instid1(VALU_DEP_1)
	v_xor_b32_e32 v2, v2, v0
	v_sub_nc_u64_e32 v[10:11], v[2:3], v[0:1]
.LBB0_5:                                ;   in Loop: Header=BB0_3 Depth=1
	s_and_not1_saveexec_b32 s0, s28
	s_cbranch_execz .LBB0_2
; %bb.6:                                ;   in Loop: Header=BB0_3 Depth=1
	v_mul_hi_u32 v0, v6, v12
	v_mov_b32_e32 v11, v4
	s_delay_alu instid0(VALU_DEP_2) | instskip(NEXT) | instid1(VALU_DEP_1)
	v_mul_lo_u32 v1, v0, s4
	v_dual_add_nc_u32 v2, 1, v0 :: v_dual_sub_nc_u32 v1, v6, v1
	s_delay_alu instid0(VALU_DEP_1) | instskip(SKIP_1) | instid1(VALU_DEP_2)
	v_subrev_nc_u32_e32 v3, s4, v1
	v_cmp_le_u32_e32 vcc_lo, s4, v1
	v_dual_cndmask_b32 v1, v1, v3 :: v_dual_cndmask_b32 v0, v0, v2
	s_delay_alu instid0(VALU_DEP_1) | instskip(NEXT) | instid1(VALU_DEP_2)
	v_cmp_le_u32_e32 vcc_lo, s4, v1
	v_add_nc_u32_e32 v2, 1, v0
	s_delay_alu instid0(VALU_DEP_1)
	v_cndmask_b32_e32 v10, v0, v2, vcc_lo
	s_branch .LBB0_2
.LBB0_7:
	s_endpgm
	.section	.rodata,"a",@progbits
	.p2align	6, 0x0
	.amdhsa_kernel _ZN2at6native12_GLOBAL__N_123philox_key_split_kernelEPKmPmll
		.amdhsa_group_segment_fixed_size 0
		.amdhsa_private_segment_fixed_size 0
		.amdhsa_kernarg_size 288
		.amdhsa_user_sgpr_count 2
		.amdhsa_user_sgpr_dispatch_ptr 0
		.amdhsa_user_sgpr_queue_ptr 0
		.amdhsa_user_sgpr_kernarg_segment_ptr 1
		.amdhsa_user_sgpr_dispatch_id 0
		.amdhsa_user_sgpr_kernarg_preload_length 0
		.amdhsa_user_sgpr_kernarg_preload_offset 0
		.amdhsa_user_sgpr_private_segment_size 0
		.amdhsa_wavefront_size32 1
		.amdhsa_uses_dynamic_stack 0
		.amdhsa_enable_private_segment 0
		.amdhsa_system_sgpr_workgroup_id_x 1
		.amdhsa_system_sgpr_workgroup_id_y 0
		.amdhsa_system_sgpr_workgroup_id_z 0
		.amdhsa_system_sgpr_workgroup_info 0
		.amdhsa_system_vgpr_workitem_id 0
		.amdhsa_next_free_vgpr 22
		.amdhsa_next_free_sgpr 40
		.amdhsa_named_barrier_count 0
		.amdhsa_reserve_vcc 1
		.amdhsa_float_round_mode_32 0
		.amdhsa_float_round_mode_16_64 0
		.amdhsa_float_denorm_mode_32 3
		.amdhsa_float_denorm_mode_16_64 3
		.amdhsa_fp16_overflow 0
		.amdhsa_memory_ordered 1
		.amdhsa_forward_progress 1
		.amdhsa_inst_pref_size 15
		.amdhsa_round_robin_scheduling 0
		.amdhsa_exception_fp_ieee_invalid_op 0
		.amdhsa_exception_fp_denorm_src 0
		.amdhsa_exception_fp_ieee_div_zero 0
		.amdhsa_exception_fp_ieee_overflow 0
		.amdhsa_exception_fp_ieee_underflow 0
		.amdhsa_exception_fp_ieee_inexact 0
		.amdhsa_exception_int_div_zero 0
	.end_amdhsa_kernel
	.section	.text._ZN2at6native12_GLOBAL__N_123philox_key_split_kernelEPKmPmll,"axG",@progbits,_ZN2at6native12_GLOBAL__N_123philox_key_split_kernelEPKmPmll,comdat
.Lfunc_end0:
	.size	_ZN2at6native12_GLOBAL__N_123philox_key_split_kernelEPKmPmll, .Lfunc_end0-_ZN2at6native12_GLOBAL__N_123philox_key_split_kernelEPKmPmll
                                        ; -- End function
	.set _ZN2at6native12_GLOBAL__N_123philox_key_split_kernelEPKmPmll.num_vgpr, 22
	.set _ZN2at6native12_GLOBAL__N_123philox_key_split_kernelEPKmPmll.num_agpr, 0
	.set _ZN2at6native12_GLOBAL__N_123philox_key_split_kernelEPKmPmll.numbered_sgpr, 40
	.set _ZN2at6native12_GLOBAL__N_123philox_key_split_kernelEPKmPmll.num_named_barrier, 0
	.set _ZN2at6native12_GLOBAL__N_123philox_key_split_kernelEPKmPmll.private_seg_size, 0
	.set _ZN2at6native12_GLOBAL__N_123philox_key_split_kernelEPKmPmll.uses_vcc, 1
	.set _ZN2at6native12_GLOBAL__N_123philox_key_split_kernelEPKmPmll.uses_flat_scratch, 0
	.set _ZN2at6native12_GLOBAL__N_123philox_key_split_kernelEPKmPmll.has_dyn_sized_stack, 0
	.set _ZN2at6native12_GLOBAL__N_123philox_key_split_kernelEPKmPmll.has_recursion, 0
	.set _ZN2at6native12_GLOBAL__N_123philox_key_split_kernelEPKmPmll.has_indirect_call, 0
	.section	.AMDGPU.csdata,"",@progbits
; Kernel info:
; codeLenInByte = 1856
; TotalNumSgprs: 42
; NumVgprs: 22
; ScratchSize: 0
; MemoryBound: 0
; FloatMode: 240
; IeeeMode: 1
; LDSByteSize: 0 bytes/workgroup (compile time only)
; SGPRBlocks: 0
; VGPRBlocks: 1
; NumSGPRsForWavesPerEU: 42
; NumVGPRsForWavesPerEU: 22
; NamedBarCnt: 0
; Occupancy: 16
; WaveLimiterHint : 0
; COMPUTE_PGM_RSRC2:SCRATCH_EN: 0
; COMPUTE_PGM_RSRC2:USER_SGPR: 2
; COMPUTE_PGM_RSRC2:TRAP_HANDLER: 0
; COMPUTE_PGM_RSRC2:TGID_X_EN: 1
; COMPUTE_PGM_RSRC2:TGID_Y_EN: 0
; COMPUTE_PGM_RSRC2:TGID_Z_EN: 0
; COMPUTE_PGM_RSRC2:TIDIG_COMP_CNT: 0
	.section	.text._ZN2at6native12_GLOBAL__N_125philox_key_fold_in_kernelEPKmPmll,"axG",@progbits,_ZN2at6native12_GLOBAL__N_125philox_key_fold_in_kernelEPKmPmll,comdat
	.globl	_ZN2at6native12_GLOBAL__N_125philox_key_fold_in_kernelEPKmPmll ; -- Begin function _ZN2at6native12_GLOBAL__N_125philox_key_fold_in_kernelEPKmPmll
	.p2align	8
	.type	_ZN2at6native12_GLOBAL__N_125philox_key_fold_in_kernelEPKmPmll,@function
_ZN2at6native12_GLOBAL__N_125philox_key_fold_in_kernelEPKmPmll: ; @_ZN2at6native12_GLOBAL__N_125philox_key_fold_in_kernelEPKmPmll
; %bb.0:
	s_clause 0x1
	s_load_b32 s2, s[0:1], 0x2c
	s_load_b128 s[4:7], s[0:1], 0x10
	s_bfe_u32 s3, ttmp6, 0x4000c
	s_and_b32 s8, ttmp6, 15
	s_add_co_i32 s3, s3, 1
	s_getreg_b32 s9, hwreg(HW_REG_IB_STS2, 6, 4)
	s_mul_i32 s3, ttmp9, s3
	v_mov_b32_e32 v1, 0
	s_add_co_i32 s8, s8, s3
	s_wait_kmcnt 0x0
	s_and_b32 s2, s2, 0xffff
	s_cmp_eq_u32 s9, 0
	s_cselect_b32 s3, ttmp9, s8
	s_mov_b32 s8, exec_lo
	v_mad_nc_u64_u32 v[6:7], s2, s3, v[0:1]
	s_mov_b32 s3, 0
	s_delay_alu instid0(VALU_DEP_1)
	v_cmpx_gt_i64_e64 s[4:5], v[6:7]
	s_cbranch_execz .LBB1_3
; %bb.1:
	s_add_nc_u64 s[12:13], s[0:1], 32
	v_lshlrev_b64_e32 v[8:9], 4, v[6:7]
	s_load_b32 s14, s[12:13], 0x0
	s_load_b128 s[8:11], s[0:1], 0x0
	s_mov_b32 s15, s3
	s_wait_xcnt 0x0
	s_mov_b64 s[0:1], 0xd2511f53
	s_mov_b64 s[12:13], 0xcd9e8d57
	s_wait_kmcnt 0x0
	s_mul_u64 s[14:15], s[2:3], s[14:15]
	s_add_nc_u64 s[10:11], s[10:11], 8
	s_lshl_b64 s[16:17], s[14:15], 4
.LBB1_2:                                ; =>This Inner Loop Header: Depth=1
	v_add_nc_u64_e32 v[2:3], s[8:9], v[8:9]
	v_add_nc_u64_e32 v[6:7], s[14:15], v[6:7]
	v_mov_b32_e32 v13, v1
	global_load_b128 v[2:5], v[2:3], off
	v_cmp_le_i64_e32 vcc_lo, s[4:5], v[6:7]
	s_or_b32 s3, vcc_lo, s3
	s_wait_loadcnt 0x0
	v_add_nc_u64_e32 v[4:5], s[6:7], v[4:5]
	s_delay_alu instid0(VALU_DEP_1) | instskip(SKIP_2) | instid1(VALU_DEP_3)
	v_dual_mov_b32 v0, v4 :: v_dual_bitop2_b32 v12, v5, v2 bitop3:0x14
	v_mul_lo_u32 v4, 0xd2511f53, v4
	v_add_nc_u32_e32 v5, 0xbb67ae85, v3
	v_mul_u64_e32 v[10:11], s[0:1], v[0:1]
	s_delay_alu instid0(VALU_DEP_1) | instskip(SKIP_3) | instid1(VALU_DEP_4)
	v_xor_b32_e32 v0, v11, v3
	v_mul_u64_e32 v[10:11], s[0:1], v[12:13]
	v_add_nc_u32_e32 v10, 0x9e3779b9, v2
	v_add_nc_u32_e32 v13, 0x3c6ef372, v2
	v_mul_u64_e32 v[14:15], s[12:13], v[0:1]
	v_mul_lo_u32 v0, 0xcd9e8d57, v0
	v_add_nc_u32_e32 v14, 0x76cf5d0a, v3
	v_xor3_b32 v4, v4, v5, v11
	s_delay_alu instid0(VALU_DEP_4) | instskip(SKIP_1) | instid1(VALU_DEP_3)
	v_xor_b32_e32 v5, v10, v15
	v_mul_lo_u32 v10, 0xd2511f53, v12
	v_mul_hi_u32 v11, 0xcd9e8d57, v4
	v_mul_lo_u32 v4, 0xcd9e8d57, v4
	v_add_nc_u32_e32 v15, 0x96a522ad, v3
	v_mul_hi_u32 v12, 0xd2511f53, v5
	v_mul_lo_u32 v5, 0xd2511f53, v5
	v_xor3_b32 v0, v0, v13, v11
	v_add_nc_u32_e32 v13, 0x32370b8f, v3
	s_delay_alu instid0(VALU_DEP_4) | instskip(SKIP_1) | instid1(VALU_DEP_4)
	v_xor3_b32 v10, v10, v14, v12
	v_add_nc_u32_e32 v14, 0xdaa66d2b, v2
	v_mul_hi_u32 v11, 0xd2511f53, v0
	v_mul_lo_u32 v0, 0xd2511f53, v0
	s_delay_alu instid0(VALU_DEP_4) | instskip(SKIP_1) | instid1(VALU_DEP_4)
	v_mul_hi_u32 v12, 0xcd9e8d57, v10
	v_mul_lo_u32 v10, 0xcd9e8d57, v10
	v_xor3_b32 v5, v5, v13, v11
	v_add_nc_u32_e32 v13, 0x78dde6e4, v2
	s_delay_alu instid0(VALU_DEP_4) | instskip(SKIP_1) | instid1(VALU_DEP_4)
	v_xor3_b32 v4, v4, v14, v12
	v_add_nc_u32_e32 v14, 0xed9eba14, v3
	v_mul_hi_u32 v11, 0xcd9e8d57, v5
	v_mul_lo_u32 v5, 0xcd9e8d57, v5
	s_delay_alu instid0(VALU_DEP_4) | instskip(SKIP_1) | instid1(VALU_DEP_4)
	v_mul_hi_u32 v12, 0xd2511f53, v4
	v_mul_lo_u32 v4, 0xd2511f53, v4
	v_xor3_b32 v10, v10, v13, v11
	v_add_nc_u32_e32 v13, 0xa9066899, v3
	s_delay_alu instid0(VALU_DEP_4) | instskip(SKIP_1) | instid1(VALU_DEP_4)
	v_xor3_b32 v0, v0, v14, v12
	v_add_nc_u32_e32 v14, 0x1715609d, v2
	v_mul_hi_u32 v11, 0xd2511f53, v10
	v_mul_lo_u32 v10, 0xd2511f53, v10
	s_delay_alu instid0(VALU_DEP_4) | instskip(SKIP_1) | instid1(VALU_DEP_4)
	v_mul_hi_u32 v12, 0xcd9e8d57, v0
	v_mul_lo_u32 v0, 0xcd9e8d57, v0
	v_xor3_b32 v4, v4, v13, v11
	v_add_nc_u32_e32 v13, 0xb54cda56, v2
	s_delay_alu instid0(VALU_DEP_4) | instskip(SKIP_1) | instid1(VALU_DEP_4)
	v_xor3_b32 v5, v5, v14, v12
	v_add_nc_u32_e32 v14, 0x646e171e, v3
	v_mul_hi_u32 v11, 0xcd9e8d57, v4
	v_mul_lo_u32 v4, 0xcd9e8d57, v4
	s_delay_alu instid0(VALU_DEP_4) | instskip(SKIP_1) | instid1(VALU_DEP_4)
	v_mul_hi_u32 v12, 0xd2511f53, v5
	v_mul_lo_u32 v5, 0xd2511f53, v5
	v_xor3_b32 v0, v0, v13, v11
	v_add_nc_u32_e32 v13, 0x1fd5c5a3, v3
	s_delay_alu instid0(VALU_DEP_4) | instskip(SKIP_1) | instid1(VALU_DEP_4)
	v_xor3_b32 v10, v10, v14, v12
	v_add_nc_u32_e32 v14, 0x5384540f, v2
	v_mul_hi_u32 v11, 0xd2511f53, v0
	v_mul_lo_u32 v0, 0xd2511f53, v0
	s_delay_alu instid0(VALU_DEP_4) | instskip(SKIP_1) | instid1(VALU_DEP_4)
	v_mul_hi_u32 v12, 0xcd9e8d57, v10
	v_mul_lo_u32 v10, 0xcd9e8d57, v10
	v_xor3_b32 v5, v5, v13, v11
	v_add_nc_u32_e32 v13, 0xf1bbcdc8, v2
	s_delay_alu instid0(VALU_DEP_4) | instskip(SKIP_1) | instid1(VALU_DEP_4)
	v_xor3_b32 v4, v4, v14, v12
	v_add_nc_u32_e32 v14, 0xdb3d7428, v3
	v_mul_hi_u32 v11, 0xcd9e8d57, v5
	s_delay_alu instid0(VALU_DEP_3) | instskip(SKIP_1) | instid1(VALU_DEP_3)
	v_mul_hi_u32 v12, 0xd2511f53, v4
	v_mul_lo_u32 v4, 0xd2511f53, v4
	v_xor3_b32 v10, v10, v13, v11
	s_delay_alu instid0(VALU_DEP_3) | instskip(SKIP_1) | instid1(VALU_DEP_3)
	v_xor3_b32 v0, v0, v14, v12
	v_mul_lo_u32 v12, 0xcd9e8d57, v5
	v_mul_hi_u32 v13, 0xd2511f53, v10
	v_mul_lo_u32 v5, 0xd2511f53, v10
	v_add_nc_u64_e32 v[10:11], s[10:11], v[8:9]
	v_mul_hi_u32 v14, 0xcd9e8d57, v0
	s_wait_xcnt 0x0
	v_mul_lo_u32 v3, 0xcd9e8d57, v0
	v_add_nc_u32_e32 v0, 0x8ff34781, v2
	v_add_nc_u64_e32 v[8:9], s[16:17], v[8:9]
	v_xor3_b32 v4, v4, v15, v13
	s_delay_alu instid0(VALU_DEP_3)
	v_xor3_b32 v2, v12, v0, v14
	global_store_b128 v[10:11], v[2:5], off offset:-8
	s_wait_xcnt 0x0
	s_and_not1_b32 exec_lo, exec_lo, s3
	s_cbranch_execnz .LBB1_2
.LBB1_3:
	s_endpgm
	.section	.rodata,"a",@progbits
	.p2align	6, 0x0
	.amdhsa_kernel _ZN2at6native12_GLOBAL__N_125philox_key_fold_in_kernelEPKmPmll
		.amdhsa_group_segment_fixed_size 0
		.amdhsa_private_segment_fixed_size 0
		.amdhsa_kernarg_size 288
		.amdhsa_user_sgpr_count 2
		.amdhsa_user_sgpr_dispatch_ptr 0
		.amdhsa_user_sgpr_queue_ptr 0
		.amdhsa_user_sgpr_kernarg_segment_ptr 1
		.amdhsa_user_sgpr_dispatch_id 0
		.amdhsa_user_sgpr_kernarg_preload_length 0
		.amdhsa_user_sgpr_kernarg_preload_offset 0
		.amdhsa_user_sgpr_private_segment_size 0
		.amdhsa_wavefront_size32 1
		.amdhsa_uses_dynamic_stack 0
		.amdhsa_enable_private_segment 0
		.amdhsa_system_sgpr_workgroup_id_x 1
		.amdhsa_system_sgpr_workgroup_id_y 0
		.amdhsa_system_sgpr_workgroup_id_z 0
		.amdhsa_system_sgpr_workgroup_info 0
		.amdhsa_system_vgpr_workitem_id 0
		.amdhsa_next_free_vgpr 16
		.amdhsa_next_free_sgpr 18
		.amdhsa_named_barrier_count 0
		.amdhsa_reserve_vcc 1
		.amdhsa_float_round_mode_32 0
		.amdhsa_float_round_mode_16_64 0
		.amdhsa_float_denorm_mode_32 3
		.amdhsa_float_denorm_mode_16_64 3
		.amdhsa_fp16_overflow 0
		.amdhsa_memory_ordered 1
		.amdhsa_forward_progress 1
		.amdhsa_inst_pref_size 9
		.amdhsa_round_robin_scheduling 0
		.amdhsa_exception_fp_ieee_invalid_op 0
		.amdhsa_exception_fp_denorm_src 0
		.amdhsa_exception_fp_ieee_div_zero 0
		.amdhsa_exception_fp_ieee_overflow 0
		.amdhsa_exception_fp_ieee_underflow 0
		.amdhsa_exception_fp_ieee_inexact 0
		.amdhsa_exception_int_div_zero 0
	.end_amdhsa_kernel
	.section	.text._ZN2at6native12_GLOBAL__N_125philox_key_fold_in_kernelEPKmPmll,"axG",@progbits,_ZN2at6native12_GLOBAL__N_125philox_key_fold_in_kernelEPKmPmll,comdat
.Lfunc_end1:
	.size	_ZN2at6native12_GLOBAL__N_125philox_key_fold_in_kernelEPKmPmll, .Lfunc_end1-_ZN2at6native12_GLOBAL__N_125philox_key_fold_in_kernelEPKmPmll
                                        ; -- End function
	.set _ZN2at6native12_GLOBAL__N_125philox_key_fold_in_kernelEPKmPmll.num_vgpr, 16
	.set _ZN2at6native12_GLOBAL__N_125philox_key_fold_in_kernelEPKmPmll.num_agpr, 0
	.set _ZN2at6native12_GLOBAL__N_125philox_key_fold_in_kernelEPKmPmll.numbered_sgpr, 18
	.set _ZN2at6native12_GLOBAL__N_125philox_key_fold_in_kernelEPKmPmll.num_named_barrier, 0
	.set _ZN2at6native12_GLOBAL__N_125philox_key_fold_in_kernelEPKmPmll.private_seg_size, 0
	.set _ZN2at6native12_GLOBAL__N_125philox_key_fold_in_kernelEPKmPmll.uses_vcc, 1
	.set _ZN2at6native12_GLOBAL__N_125philox_key_fold_in_kernelEPKmPmll.uses_flat_scratch, 0
	.set _ZN2at6native12_GLOBAL__N_125philox_key_fold_in_kernelEPKmPmll.has_dyn_sized_stack, 0
	.set _ZN2at6native12_GLOBAL__N_125philox_key_fold_in_kernelEPKmPmll.has_recursion, 0
	.set _ZN2at6native12_GLOBAL__N_125philox_key_fold_in_kernelEPKmPmll.has_indirect_call, 0
	.section	.AMDGPU.csdata,"",@progbits
; Kernel info:
; codeLenInByte = 1048
; TotalNumSgprs: 20
; NumVgprs: 16
; ScratchSize: 0
; MemoryBound: 0
; FloatMode: 240
; IeeeMode: 1
; LDSByteSize: 0 bytes/workgroup (compile time only)
; SGPRBlocks: 0
; VGPRBlocks: 0
; NumSGPRsForWavesPerEU: 20
; NumVGPRsForWavesPerEU: 16
; NamedBarCnt: 0
; Occupancy: 16
; WaveLimiterHint : 0
; COMPUTE_PGM_RSRC2:SCRATCH_EN: 0
; COMPUTE_PGM_RSRC2:USER_SGPR: 2
; COMPUTE_PGM_RSRC2:TRAP_HANDLER: 0
; COMPUTE_PGM_RSRC2:TGID_X_EN: 1
; COMPUTE_PGM_RSRC2:TGID_Y_EN: 0
; COMPUTE_PGM_RSRC2:TGID_Z_EN: 0
; COMPUTE_PGM_RSRC2:TIDIG_COMP_CNT: 0
	.section	.AMDGPU.gpr_maximums,"",@progbits
	.set amdgpu.max_num_vgpr, 0
	.set amdgpu.max_num_agpr, 0
	.set amdgpu.max_num_sgpr, 0
	.section	.AMDGPU.csdata,"",@progbits
	.type	__hip_cuid_5e9eeaab9cf3c9a2,@object ; @__hip_cuid_5e9eeaab9cf3c9a2
	.section	.bss,"aw",@nobits
	.globl	__hip_cuid_5e9eeaab9cf3c9a2
__hip_cuid_5e9eeaab9cf3c9a2:
	.byte	0                               ; 0x0
	.size	__hip_cuid_5e9eeaab9cf3c9a2, 1

	.ident	"AMD clang version 22.0.0git (https://github.com/RadeonOpenCompute/llvm-project roc-7.2.4 26084 f58b06dce1f9c15707c5f808fd002e18c2accf7e)"
	.section	".note.GNU-stack","",@progbits
	.addrsig
	.addrsig_sym __hip_cuid_5e9eeaab9cf3c9a2
	.amdgpu_metadata
---
amdhsa.kernels:
  - .args:
      - .actual_access:  read_only
        .address_space:  global
        .offset:         0
        .size:           8
        .value_kind:     global_buffer
      - .actual_access:  write_only
        .address_space:  global
        .offset:         8
        .size:           8
        .value_kind:     global_buffer
      - .offset:         16
        .size:           8
        .value_kind:     by_value
      - .offset:         24
        .size:           8
        .value_kind:     by_value
      - .offset:         32
        .size:           4
        .value_kind:     hidden_block_count_x
      - .offset:         36
        .size:           4
        .value_kind:     hidden_block_count_y
      - .offset:         40
        .size:           4
        .value_kind:     hidden_block_count_z
      - .offset:         44
        .size:           2
        .value_kind:     hidden_group_size_x
      - .offset:         46
        .size:           2
        .value_kind:     hidden_group_size_y
      - .offset:         48
        .size:           2
        .value_kind:     hidden_group_size_z
      - .offset:         50
        .size:           2
        .value_kind:     hidden_remainder_x
      - .offset:         52
        .size:           2
        .value_kind:     hidden_remainder_y
      - .offset:         54
        .size:           2
        .value_kind:     hidden_remainder_z
      - .offset:         72
        .size:           8
        .value_kind:     hidden_global_offset_x
      - .offset:         80
        .size:           8
        .value_kind:     hidden_global_offset_y
      - .offset:         88
        .size:           8
        .value_kind:     hidden_global_offset_z
      - .offset:         96
        .size:           2
        .value_kind:     hidden_grid_dims
    .group_segment_fixed_size: 0
    .kernarg_segment_align: 8
    .kernarg_segment_size: 288
    .language:       OpenCL C
    .language_version:
      - 2
      - 0
    .max_flat_workgroup_size: 1024
    .name:           _ZN2at6native12_GLOBAL__N_123philox_key_split_kernelEPKmPmll
    .private_segment_fixed_size: 0
    .sgpr_count:     42
    .sgpr_spill_count: 0
    .symbol:         _ZN2at6native12_GLOBAL__N_123philox_key_split_kernelEPKmPmll.kd
    .uniform_work_group_size: 1
    .uses_dynamic_stack: false
    .vgpr_count:     22
    .vgpr_spill_count: 0
    .wavefront_size: 32
  - .args:
      - .actual_access:  read_only
        .address_space:  global
        .offset:         0
        .size:           8
        .value_kind:     global_buffer
      - .actual_access:  write_only
        .address_space:  global
        .offset:         8
        .size:           8
        .value_kind:     global_buffer
      - .offset:         16
        .size:           8
        .value_kind:     by_value
      - .offset:         24
        .size:           8
        .value_kind:     by_value
      - .offset:         32
        .size:           4
        .value_kind:     hidden_block_count_x
      - .offset:         36
        .size:           4
        .value_kind:     hidden_block_count_y
      - .offset:         40
        .size:           4
        .value_kind:     hidden_block_count_z
      - .offset:         44
        .size:           2
        .value_kind:     hidden_group_size_x
      - .offset:         46
        .size:           2
        .value_kind:     hidden_group_size_y
      - .offset:         48
        .size:           2
        .value_kind:     hidden_group_size_z
      - .offset:         50
        .size:           2
        .value_kind:     hidden_remainder_x
      - .offset:         52
        .size:           2
        .value_kind:     hidden_remainder_y
      - .offset:         54
        .size:           2
        .value_kind:     hidden_remainder_z
      - .offset:         72
        .size:           8
        .value_kind:     hidden_global_offset_x
      - .offset:         80
        .size:           8
        .value_kind:     hidden_global_offset_y
      - .offset:         88
        .size:           8
        .value_kind:     hidden_global_offset_z
      - .offset:         96
        .size:           2
        .value_kind:     hidden_grid_dims
    .group_segment_fixed_size: 0
    .kernarg_segment_align: 8
    .kernarg_segment_size: 288
    .language:       OpenCL C
    .language_version:
      - 2
      - 0
    .max_flat_workgroup_size: 1024
    .name:           _ZN2at6native12_GLOBAL__N_125philox_key_fold_in_kernelEPKmPmll
    .private_segment_fixed_size: 0
    .sgpr_count:     20
    .sgpr_spill_count: 0
    .symbol:         _ZN2at6native12_GLOBAL__N_125philox_key_fold_in_kernelEPKmPmll.kd
    .uniform_work_group_size: 1
    .uses_dynamic_stack: false
    .vgpr_count:     16
    .vgpr_spill_count: 0
    .wavefront_size: 32
amdhsa.target:   amdgcn-amd-amdhsa--gfx1250
amdhsa.version:
  - 1
  - 2
...

	.end_amdgpu_metadata
